;; amdgpu-corpus repo=ROCm/rocFFT kind=compiled arch=gfx950 opt=O3
	.text
	.amdgcn_target "amdgcn-amd-amdhsa--gfx950"
	.amdhsa_code_object_version 6
	.protected	fft_rtc_fwd_len640_factors_8_10_8_wgs_128_tpt_64_halfLds_sp_ip_CI_unitstride_sbrr_dirReg ; -- Begin function fft_rtc_fwd_len640_factors_8_10_8_wgs_128_tpt_64_halfLds_sp_ip_CI_unitstride_sbrr_dirReg
	.globl	fft_rtc_fwd_len640_factors_8_10_8_wgs_128_tpt_64_halfLds_sp_ip_CI_unitstride_sbrr_dirReg
	.p2align	8
	.type	fft_rtc_fwd_len640_factors_8_10_8_wgs_128_tpt_64_halfLds_sp_ip_CI_unitstride_sbrr_dirReg,@function
fft_rtc_fwd_len640_factors_8_10_8_wgs_128_tpt_64_halfLds_sp_ip_CI_unitstride_sbrr_dirReg: ; @fft_rtc_fwd_len640_factors_8_10_8_wgs_128_tpt_64_halfLds_sp_ip_CI_unitstride_sbrr_dirReg
; %bb.0:
	s_load_dwordx2 s[8:9], s[0:1], 0x50
	s_load_dwordx4 s[4:7], s[0:1], 0x0
	s_load_dwordx2 s[10:11], s[0:1], 0x18
	v_lshrrev_b32_e32 v1, 6, v0
	v_lshl_or_b32 v6, s2, 1, v1
	v_mov_b32_e32 v4, 0
	s_waitcnt lgkmcnt(0)
	v_cmp_lt_u64_e64 s[2:3], s[6:7], 2
	v_mov_b32_e32 v7, v4
	s_and_b64 vcc, exec, s[2:3]
	v_mov_b64_e32 v[2:3], 0
	s_cbranch_vccnz .LBB0_8
; %bb.1:
	s_load_dwordx2 s[2:3], s[0:1], 0x10
	s_add_u32 s12, s10, 8
	s_addc_u32 s13, s11, 0
	s_mov_b64 s[14:15], 1
	v_mov_b64_e32 v[2:3], 0
	s_waitcnt lgkmcnt(0)
	s_add_u32 s16, s2, 8
	s_addc_u32 s17, s3, 0
.LBB0_2:                                ; =>This Inner Loop Header: Depth=1
	s_load_dwordx2 s[18:19], s[16:17], 0x0
                                        ; implicit-def: $vgpr8_vgpr9
	s_waitcnt lgkmcnt(0)
	v_or_b32_e32 v5, s19, v7
	v_cmp_ne_u64_e32 vcc, 0, v[4:5]
	s_and_saveexec_b64 s[2:3], vcc
	s_xor_b64 s[20:21], exec, s[2:3]
	s_cbranch_execz .LBB0_4
; %bb.3:                                ;   in Loop: Header=BB0_2 Depth=1
	v_cvt_f32_u32_e32 v1, s18
	v_cvt_f32_u32_e32 v5, s19
	s_sub_u32 s2, 0, s18
	s_subb_u32 s3, 0, s19
	v_fmac_f32_e32 v1, 0x4f800000, v5
	v_rcp_f32_e32 v1, v1
	s_nop 0
	v_mul_f32_e32 v1, 0x5f7ffffc, v1
	v_mul_f32_e32 v5, 0x2f800000, v1
	v_trunc_f32_e32 v5, v5
	v_fmac_f32_e32 v1, 0xcf800000, v5
	v_cvt_u32_f32_e32 v5, v5
	v_cvt_u32_f32_e32 v1, v1
	v_mul_lo_u32 v8, s2, v5
	v_mul_hi_u32 v10, s2, v1
	v_mul_lo_u32 v9, s3, v1
	v_add_u32_e32 v10, v10, v8
	v_mul_lo_u32 v12, s2, v1
	v_add_u32_e32 v13, v10, v9
	v_mul_hi_u32 v8, v1, v12
	v_mul_hi_u32 v11, v1, v13
	v_mul_lo_u32 v10, v1, v13
	v_mov_b32_e32 v9, v4
	v_lshl_add_u64 v[8:9], v[8:9], 0, v[10:11]
	v_mul_hi_u32 v11, v5, v12
	v_mul_lo_u32 v12, v5, v12
	v_add_co_u32_e32 v8, vcc, v8, v12
	v_mul_hi_u32 v10, v5, v13
	s_nop 0
	v_addc_co_u32_e32 v8, vcc, v9, v11, vcc
	v_mov_b32_e32 v9, v4
	s_nop 0
	v_addc_co_u32_e32 v11, vcc, 0, v10, vcc
	v_mul_lo_u32 v10, v5, v13
	v_lshl_add_u64 v[8:9], v[8:9], 0, v[10:11]
	v_add_co_u32_e32 v1, vcc, v1, v8
	v_mul_lo_u32 v10, s2, v1
	s_nop 0
	v_addc_co_u32_e32 v5, vcc, v5, v9, vcc
	v_mul_lo_u32 v8, s2, v5
	v_mul_hi_u32 v9, s2, v1
	v_add_u32_e32 v8, v9, v8
	v_mul_lo_u32 v9, s3, v1
	v_add_u32_e32 v12, v8, v9
	v_mul_hi_u32 v14, v5, v10
	v_mul_lo_u32 v15, v5, v10
	v_mul_hi_u32 v9, v1, v12
	v_mul_lo_u32 v8, v1, v12
	v_mul_hi_u32 v10, v1, v10
	v_mov_b32_e32 v11, v4
	v_lshl_add_u64 v[8:9], v[10:11], 0, v[8:9]
	v_add_co_u32_e32 v8, vcc, v8, v15
	v_mul_hi_u32 v13, v5, v12
	s_nop 0
	v_addc_co_u32_e32 v8, vcc, v9, v14, vcc
	v_mul_lo_u32 v10, v5, v12
	s_nop 0
	v_addc_co_u32_e32 v11, vcc, 0, v13, vcc
	v_mov_b32_e32 v9, v4
	v_lshl_add_u64 v[8:9], v[8:9], 0, v[10:11]
	v_add_co_u32_e32 v1, vcc, v1, v8
	v_mul_hi_u32 v10, v6, v1
	s_nop 0
	v_addc_co_u32_e32 v5, vcc, v5, v9, vcc
	v_mad_u64_u32 v[8:9], s[2:3], v6, v5, 0
	v_mov_b32_e32 v11, v4
	v_lshl_add_u64 v[8:9], v[10:11], 0, v[8:9]
	v_mad_u64_u32 v[12:13], s[2:3], v7, v1, 0
	v_add_co_u32_e32 v1, vcc, v8, v12
	v_mad_u64_u32 v[10:11], s[2:3], v7, v5, 0
	s_nop 0
	v_addc_co_u32_e32 v8, vcc, v9, v13, vcc
	v_mov_b32_e32 v9, v4
	s_nop 0
	v_addc_co_u32_e32 v11, vcc, 0, v11, vcc
	v_lshl_add_u64 v[8:9], v[8:9], 0, v[10:11]
	v_mul_lo_u32 v1, s19, v8
	v_mul_lo_u32 v5, s18, v9
	v_mad_u64_u32 v[10:11], s[2:3], s18, v8, 0
	v_add3_u32 v1, v11, v5, v1
	v_sub_u32_e32 v5, v7, v1
	v_mov_b32_e32 v11, s19
	v_sub_co_u32_e32 v14, vcc, v6, v10
	v_lshl_add_u64 v[12:13], v[8:9], 0, 1
	s_nop 0
	v_subb_co_u32_e64 v5, s[2:3], v5, v11, vcc
	v_subrev_co_u32_e64 v10, s[2:3], s18, v14
	v_subb_co_u32_e32 v1, vcc, v7, v1, vcc
	s_nop 0
	v_subbrev_co_u32_e64 v5, s[2:3], 0, v5, s[2:3]
	v_cmp_le_u32_e64 s[2:3], s19, v5
	v_cmp_le_u32_e32 vcc, s19, v1
	s_nop 0
	v_cndmask_b32_e64 v11, 0, -1, s[2:3]
	v_cmp_le_u32_e64 s[2:3], s18, v10
	s_nop 1
	v_cndmask_b32_e64 v10, 0, -1, s[2:3]
	v_cmp_eq_u32_e64 s[2:3], s19, v5
	s_nop 1
	v_cndmask_b32_e64 v5, v11, v10, s[2:3]
	v_lshl_add_u64 v[10:11], v[8:9], 0, 2
	v_cmp_ne_u32_e64 s[2:3], 0, v5
	s_nop 1
	v_cndmask_b32_e64 v5, v13, v11, s[2:3]
	v_cndmask_b32_e64 v11, 0, -1, vcc
	v_cmp_le_u32_e32 vcc, s18, v14
	s_nop 1
	v_cndmask_b32_e64 v13, 0, -1, vcc
	v_cmp_eq_u32_e32 vcc, s19, v1
	s_nop 1
	v_cndmask_b32_e32 v1, v11, v13, vcc
	v_cmp_ne_u32_e32 vcc, 0, v1
	v_cndmask_b32_e64 v1, v12, v10, s[2:3]
	s_nop 0
	v_cndmask_b32_e32 v9, v9, v5, vcc
	v_cndmask_b32_e32 v8, v8, v1, vcc
.LBB0_4:                                ;   in Loop: Header=BB0_2 Depth=1
	s_andn2_saveexec_b64 s[2:3], s[20:21]
	s_cbranch_execz .LBB0_6
; %bb.5:                                ;   in Loop: Header=BB0_2 Depth=1
	v_cvt_f32_u32_e32 v1, s18
	s_sub_i32 s20, 0, s18
	v_rcp_iflag_f32_e32 v1, v1
	s_nop 0
	v_mul_f32_e32 v1, 0x4f7ffffe, v1
	v_cvt_u32_f32_e32 v1, v1
	v_mul_lo_u32 v5, s20, v1
	v_mul_hi_u32 v5, v1, v5
	v_add_u32_e32 v1, v1, v5
	v_mul_hi_u32 v1, v6, v1
	v_mul_lo_u32 v5, v1, s18
	v_sub_u32_e32 v5, v6, v5
	v_add_u32_e32 v8, 1, v1
	v_subrev_u32_e32 v9, s18, v5
	v_cmp_le_u32_e32 vcc, s18, v5
	s_nop 1
	v_cndmask_b32_e32 v5, v5, v9, vcc
	v_cndmask_b32_e32 v1, v1, v8, vcc
	v_add_u32_e32 v8, 1, v1
	v_cmp_le_u32_e32 vcc, s18, v5
	v_mov_b32_e32 v9, v4
	s_nop 0
	v_cndmask_b32_e32 v8, v1, v8, vcc
.LBB0_6:                                ;   in Loop: Header=BB0_2 Depth=1
	s_or_b64 exec, exec, s[2:3]
	v_mad_u64_u32 v[10:11], s[2:3], v8, s18, 0
	s_load_dwordx2 s[2:3], s[12:13], 0x0
	v_mul_lo_u32 v1, v9, s18
	v_mul_lo_u32 v5, v8, s19
	v_add3_u32 v1, v11, v5, v1
	v_sub_co_u32_e32 v5, vcc, v6, v10
	s_add_u32 s14, s14, 1
	s_nop 0
	v_subb_co_u32_e32 v1, vcc, v7, v1, vcc
	s_addc_u32 s15, s15, 0
	s_waitcnt lgkmcnt(0)
	v_mul_lo_u32 v1, s2, v1
	v_mul_lo_u32 v6, s3, v5
	v_mad_u64_u32 v[2:3], s[2:3], s2, v5, v[2:3]
	s_add_u32 s12, s12, 8
	v_add3_u32 v3, v6, v3, v1
	s_addc_u32 s13, s13, 0
	v_mov_b64_e32 v[6:7], s[6:7]
	s_add_u32 s16, s16, 8
	v_cmp_ge_u64_e32 vcc, s[14:15], v[6:7]
	s_addc_u32 s17, s17, 0
	s_cbranch_vccnz .LBB0_9
; %bb.7:                                ;   in Loop: Header=BB0_2 Depth=1
	v_mov_b64_e32 v[6:7], v[8:9]
	s_branch .LBB0_2
.LBB0_8:
	v_mov_b64_e32 v[8:9], v[6:7]
.LBB0_9:
	s_lshl_b64 s[2:3], s[6:7], 3
	s_add_u32 s2, s10, s2
	s_addc_u32 s3, s11, s3
	s_load_dwordx2 s[6:7], s[2:3], 0x0
	s_load_dwordx2 s[10:11], s[0:1], 0x20
	v_and_b32_e32 v52, 63, v0
	v_or_b32_e32 v53, 64, v52
                                        ; implicit-def: $vgpr54
	s_waitcnt lgkmcnt(0)
	v_mul_lo_u32 v1, s6, v9
	v_mul_lo_u32 v4, s7, v8
	v_mad_u64_u32 v[2:3], s[0:1], s6, v8, v[2:3]
	v_add3_u32 v3, v4, v3, v1
	v_cmp_gt_u64_e64 s[0:1], s[10:11], v[8:9]
	v_cmp_le_u64_e32 vcc, s[10:11], v[8:9]
                                        ; implicit-def: $sgpr6
	s_and_saveexec_b64 s[2:3], vcc
	s_xor_b64 s[2:3], exec, s[2:3]
; %bb.10:
	v_or_b32_e32 v54, 64, v52
	s_mov_b32 s6, 0
; %bb.11:
	s_or_saveexec_b64 s[2:3], s[2:3]
	v_mov_b32_e32 v6, s6
	v_lshl_add_u64 v[4:5], v[2:3], 3, s[8:9]
	v_lshlrev_b32_e32 v2, 3, v52
	v_mov_b32_e32 v7, s6
	v_mov_b32_e32 v10, s6
	;; [unrolled: 1-line block ×7, first 2 shown]
                                        ; implicit-def: $vgpr43
                                        ; implicit-def: $vgpr31
                                        ; implicit-def: $vgpr22
                                        ; implicit-def: $vgpr26
                                        ; implicit-def: $vgpr20
                                        ; implicit-def: $vgpr28
                                        ; implicit-def: $vgpr12
                                        ; implicit-def: $vgpr16
                                        ; implicit-def: $vgpr24
                                        ; implicit-def: $vgpr44
                                        ; implicit-def: $vgpr37
                                        ; implicit-def: $vgpr34
                                        ; implicit-def: $vgpr14
                                        ; implicit-def: $vgpr38
	s_xor_b64 exec, exec, s[2:3]
	s_cbranch_execz .LBB0_15
; %bb.12:
	v_mov_b32_e32 v3, 0
	v_lshl_add_u64 v[16:17], v[4:5], 0, v[2:3]
	v_add_co_u32_e32 v6, vcc, 0x1000, v16
	global_load_dwordx2 v[12:13], v[16:17], off
	global_load_dwordx2 v[24:25], v[16:17], off offset:640
	global_load_dwordx2 v[34:35], v[16:17], off offset:1280
	;; [unrolled: 1-line block ×3, first 2 shown]
	v_addc_co_u32_e32 v7, vcc, 0, v17, vcc
	global_load_dwordx2 v[40:41], v[16:17], off offset:2560
	global_load_dwordx2 v[38:39], v[16:17], off offset:3200
	;; [unrolled: 1-line block ×4, first 2 shown]
	s_movk_i32 s6, 0x50
	v_cmp_gt_u32_e32 vcc, s6, v53
	v_mov_b32_e32 v18, v3
	v_mov_b32_e32 v9, v3
	;; [unrolled: 1-line block ×7, first 2 shown]
                                        ; implicit-def: $vgpr29
                                        ; implicit-def: $vgpr21
                                        ; implicit-def: $vgpr27
                                        ; implicit-def: $vgpr23
	s_and_saveexec_b64 s[6:7], vcc
	s_cbranch_execz .LBB0_14
; %bb.13:
	v_add_co_u32_e32 v36, vcc, 0x1000, v16
	global_load_dwordx2 v[6:7], v[16:17], off offset:512
	global_load_dwordx2 v[10:11], v[16:17], off offset:1152
	;; [unrolled: 1-line block ×4, first 2 shown]
	v_addc_co_u32_e32 v37, vcc, 0, v17, vcc
	global_load_dwordx2 v[22:23], v[16:17], off offset:3072
	global_load_dwordx2 v[26:27], v[16:17], off offset:3712
	;; [unrolled: 1-line block ×4, first 2 shown]
	s_waitcnt vmcnt(4)
	v_mov_b32_e32 v3, v19
.LBB0_14:
	s_or_b64 exec, exec, s[6:7]
	v_mov_b32_e32 v54, v53
	v_mov_b32_e32 v19, v3
	s_waitcnt vmcnt(0)
	v_mov_b32_e32 v43, v30
	v_mov_b32_e32 v16, v13
	;; [unrolled: 1-line block ×12, first 2 shown]
.LBB0_15:
	s_or_b64 exec, exec, s[2:3]
	v_and_b32_e32 v1, 64, v0
	v_mov_b32_e32 v3, 0x280
	v_cmp_ne_u32_e32 vcc, 0, v1
	v_pk_add_f32 v[40:41], v[44:45], v[42:43] neg_lo:[0,1] neg_hi:[0,1]
	v_pk_add_f32 v[42:43], v[24:25], v[30:31] neg_lo:[0,1] neg_hi:[0,1]
	v_cndmask_b32_e32 v55, 0, v3, vcc
	v_fma_f32 v3, v24, 2.0, -v42
	v_fma_f32 v15, v45, 2.0, -v41
	v_sub_f32_e32 v24, v3, v15
	v_fma_f32 v32, v3, 2.0, -v24
	v_add_f32_e32 v3, v40, v41
	v_pk_add_f32 v[50:51], v[10:11], v[26:27] neg_lo:[0,1] neg_hi:[0,1]
	v_pk_add_f32 v[26:27], v[18:19], v[28:29] neg_lo:[0,1] neg_hi:[0,1]
	v_fma_f32 v15, v40, 2.0, -v3
	v_mul_f32_e32 v31, 0x3f3504f3, v3
	v_fma_f32 v3, v11, 2.0, -v51
	v_fma_f32 v11, v19, 2.0, -v27
	v_pk_add_f32 v[46:47], v[50:51], v[26:27] op_sel:[0,1] op_sel_hi:[1,0] neg_lo:[0,1] neg_hi:[0,1]
	v_fma_f32 v57, v18, 2.0, -v26
	v_sub_f32_e32 v18, v3, v11
	v_pk_add_f32 v[26:27], v[50:51], v[26:27] op_sel:[0,1] op_sel_hi:[1,0]
	v_fma_f32 v11, v50, 2.0, -v46
	v_sub_f32_e32 v60, v42, v43
	s_mov_b32 s2, 0x3f3504f3
	v_mov_b32_e32 v47, v27
	v_mul_f32_e32 v29, 0x3f3504f3, v11
	v_mov_b32_e32 v59, v10
	v_pk_add_f32 v[10:11], v[8:9], v[20:21] neg_lo:[0,1] neg_hi:[0,1]
	v_fma_f32 v1, v44, 2.0, -v40
	v_fma_f32 v25, v25, 2.0, -v43
	;; [unrolled: 1-line block ×3, first 2 shown]
	v_mul_f32_e32 v33, 0x3f3504f3, v15
	v_mov_b32_e32 v42, 2.0
	v_mov_b32_e32 v43, v22
	v_add_f32_e32 v40, v9, v9
	v_fma_f32 v15, v51, 2.0, -v27
	v_pk_mul_f32 v[26:27], v[46:47], s[2:3] op_sel_hi:[1,0]
	v_mov_b32_e32 v41, v8
	v_mov_b32_e32 v46, v11
	;; [unrolled: 1-line block ×3, first 2 shown]
	v_pk_add_f32 v[44:45], v[6:7], v[42:43] op_sel_hi:[0,1] neg_lo:[0,1] neg_hi:[0,1]
	v_pk_add_f32 v[40:41], v[40:41], v[46:47] neg_lo:[0,1] neg_hi:[0,1]
	v_pk_add_f32 v[22:23], v[6:7], v[22:23] neg_lo:[0,1] neg_hi:[0,1]
	v_fma_f32 v10, v8, 2.0, -v41
	v_mov_b32_e32 v8, v45
	v_mov_b32_e32 v9, v42
	v_fma_f32 v22, v7, 2.0, -v23
	v_pk_fma_f32 v[6:7], v[6:7], v[42:43], v[8:9] op_sel_hi:[0,1,1] neg_lo:[0,0,1] neg_hi:[0,0,1]
	v_mov_b32_e32 v8, v6
	v_mov_b32_e32 v9, v45
	v_pk_add_f32 v[8:9], v[8:9], v[10:11] neg_lo:[0,1] neg_hi:[0,1]
	v_mov_b32_e32 v58, v23
	v_mov_b32_e32 v43, v9
	v_pk_mul_f32 v[46:47], v[6:7], v[42:43]
	v_pk_add_f32 v[42:43], v[22:23], v[40:41]
	v_mov_b32_e32 v11, v50
	v_mov_b32_e32 v10, v43
	v_mul_f32_e32 v35, 0x3f3504f3, v61
	v_mul_f32_e32 v56, 0x3f3504f3, v15
	v_pk_fma_f32 v[20:21], v[58:59], 2.0, v[10:11] op_sel_hi:[1,0,1] neg_lo:[0,0,1] neg_hi:[0,0,1]
	v_pk_fma_f32 v[6:7], v[44:45], 2.0, v[8:9] op_sel_hi:[1,0,1] neg_lo:[0,0,1] neg_hi:[0,0,1]
	v_pk_add_f32 v[44:45], v[20:21], v[56:57] neg_lo:[0,1] neg_hi:[0,1]
	v_mov_b32_e32 v11, v56
	v_pk_add_f32 v[56:57], v[34:35], v[38:39] op_sel_hi:[1,0] neg_lo:[0,1] neg_hi:[0,1]
	v_add_f32_e32 v36, v34, v34
	v_mov_b32_e32 v50, v13
	v_mov_b32_e32 v57, v14
	v_pk_add_f32 v[50:51], v[12:13], v[50:51] neg_lo:[0,1] neg_hi:[0,1]
	v_pk_add_f32 v[38:39], v[36:37], v[56:57] neg_lo:[0,1] neg_hi:[0,1]
	v_fma_f32 v12, v12, 2.0, -v50
	v_mov_b32_e32 v13, v50
	v_fma_f32 v14, v37, 2.0, -v39
	v_mov_b32_e32 v15, v56
	v_mov_b32_e32 v47, v7
	;; [unrolled: 1-line block ×3, first 2 shown]
	v_pk_add_f32 v[14:15], v[12:13], v[14:15] neg_lo:[0,1] neg_hi:[0,1]
	v_pk_add_f32 v[6:7], v[8:9], v[6:7]
	v_pk_fma_f32 v[12:13], v[12:13], 2.0, v[14:15] op_sel_hi:[1,0,1] neg_lo:[0,0,1] neg_hi:[0,0,1]
	v_sub_f32_e32 v30, v1, v25
	v_mov_b32_e32 v28, v8
	v_mov_b32_e32 v6, v8
	;; [unrolled: 1-line block ×3, first 2 shown]
	v_fmamk_f32 v37, v61, 0xbf3504f3, v13
	v_mov_b32_e32 v36, v12
	v_fmamk_f32 v51, v60, 0x3f3504f3, v15
	v_mov_b32_e32 v50, v14
	v_pk_add_f32 v[48:49], v[46:47], v[28:29] neg_lo:[0,1] neg_hi:[0,1]
	v_pk_add_f32 v[6:7], v[6:7], v[18:19] neg_lo:[0,1] neg_hi:[0,1]
	v_fma_f32 v10, v21, 2.0, -v45
	v_lshl_add_u32 v28, v52, 5, 0
	v_pk_add_f32 v[36:37], v[36:37], v[32:33] neg_lo:[0,1] neg_hi:[0,1]
	v_pk_add_f32 v[50:51], v[50:51], v[30:31] neg_lo:[0,1] neg_hi:[0,1]
	v_mul_f32_e32 v25, 0x3f3504f3, v60
	v_pk_add_f32 v[10:11], v[48:49], v[10:11] neg_lo:[0,1] neg_hi:[0,1]
	v_pk_fma_f32 v[8:9], v[8:9], 2.0, v[6:7] op_sel_hi:[1,0,1] neg_lo:[0,0,1] neg_hi:[0,0,1]
	v_lshl_add_u32 v46, v55, 2, v28
	v_pk_fma_f32 v[12:13], v[12:13], 2.0, v[36:37] op_sel_hi:[1,0,1] neg_lo:[0,0,1] neg_hi:[0,0,1]
	v_pk_fma_f32 v[14:15], v[14:15], 2.0, v[50:51] op_sel_hi:[1,0,1] neg_lo:[0,0,1] neg_hi:[0,0,1]
	v_cmp_lt_u32_e32 vcc, 15, v52
	v_cmp_gt_u32_e64 s[2:3], 16, v52
	v_lshlrev_b32_e32 v21, 2, v55
	ds_write2_b64 v46, v[12:13], v[14:15] offset1:1
	ds_write2_b64 v46, v[36:37], v[50:51] offset0:2 offset1:3
	s_and_saveexec_b64 s[6:7], s[2:3]
	s_cbranch_execz .LBB0_17
; %bb.16:
	v_lshlrev_b32_e32 v12, 5, v54
	v_mov_b32_e32 v49, v47
	v_add3_u32 v14, 0, v12, v21
	v_pk_fma_f32 v[12:13], v[48:49], 2.0, v[10:11] op_sel_hi:[1,0,1] neg_lo:[0,0,1] neg_hi:[0,0,1]
	ds_write2_b64 v14, v[12:13], v[8:9] offset1:1
	ds_write2_b64 v14, v[10:11], v[6:7] offset0:2 offset1:3
.LBB0_17:
	s_or_b64 exec, exec, s[6:7]
	v_mov_b32_e32 v12, v17
	v_fma_f32 v34, v1, 2.0, -v30
	v_pk_add_f32 v[12:13], v[16:17], v[12:13] neg_lo:[0,1] neg_hi:[0,1]
	v_fma_f32 v1, v3, 2.0, -v18
	v_pk_add_f32 v[18:19], v[22:23], v[40:41] neg_lo:[0,1] neg_hi:[0,1]
	v_pk_add_f32 v[14:15], v[42:43], v[26:27]
	v_fma_f32 v36, v16, 2.0, -v12
	v_mov_b32_e32 v37, v12
	v_mov_b32_e32 v12, v29
	v_mov_b32_e32 v13, v18
	v_mov_b32_e32 v14, v15
	v_pk_add_f32 v[12:13], v[12:13], v[44:45]
	v_pk_add_f32 v[14:15], v[26:27], v[14:15]
	v_mov_b32_e32 v19, v43
	v_fma_f32 v32, v22, 2.0, -v18
	v_mov_b32_e32 v22, v13
	v_mov_b32_e32 v23, v14
	v_pk_fma_f32 v[18:19], v[18:19], 2.0, v[22:23] op_sel_hi:[1,0,1] neg_lo:[0,0,1] neg_hi:[0,0,1]
	v_pk_add_f32 v[22:23], v[36:37], v[38:39] neg_lo:[0,1] neg_hi:[0,1]
	v_pk_add_f32 v[26:27], v[36:37], v[38:39]
	v_sub_f32_e32 v16, v32, v1
	v_mov_b32_e32 v23, v27
	v_pk_fma_f32 v[36:37], v[36:37], 2.0, v[22:23] op_sel_hi:[1,0,1] neg_lo:[0,0,1] neg_hi:[0,0,1]
	v_add_f32_e32 v27, v27, v31
	v_sub_f32_e32 v39, v37, v33
	v_mov_b32_e32 v38, v36
	v_mov_b32_e32 v26, v22
	v_pk_add_f32 v[40:41], v[36:37], v[34:35] neg_lo:[0,1] neg_hi:[0,1]
	v_pk_add_f32 v[34:35], v[38:39], v[34:35]
	v_pk_add_f32 v[38:39], v[26:27], v[24:25]
	v_lshlrev_b32_e32 v1, 2, v52
	v_mul_i32_i24_e32 v15, 0xffffffe4, v52
	v_pk_fma_f32 v[42:43], v[22:23], 2.0, v[38:39] op_sel_hi:[1,0,1] neg_lo:[0,0,1] neg_hi:[0,0,1]
	v_add3_u32 v23, 0, v21, v1
	v_lshl_add_u32 v34, v54, 2, 0
	v_add3_u32 v15, v28, v15, v21
	s_waitcnt lgkmcnt(0)
	s_barrier
	v_add_u32_e32 v3, v34, v21
	ds_read_b32 v22, v23
	ds_read_b32 v1, v3
	ds_read2st64_b32 v[24:25], v15 offset0:2 offset1:3
	ds_read2st64_b32 v[30:31], v15 offset0:4 offset1:5
	;; [unrolled: 1-line block ×4, first 2 shown]
	v_mov_b32_e32 v41, v35
	v_pk_fma_f32 v[36:37], v[36:37], 2.0, v[40:41] op_sel_hi:[1,0,1] neg_lo:[0,0,1] neg_hi:[0,0,1]
	s_waitcnt lgkmcnt(0)
	s_barrier
	ds_write2_b64 v46, v[36:37], v[42:43] offset1:1
	ds_write2_b64 v46, v[40:41], v[38:39] offset0:2 offset1:3
	s_and_saveexec_b64 s[6:7], s[2:3]
	s_cbranch_execz .LBB0_19
; %bb.18:
	v_mov_b32_e32 v17, v12
	v_mov_b32_e32 v33, v20
	v_pk_fma_f32 v[32:33], v[32:33], 2.0, v[16:17] op_sel_hi:[1,0,1] neg_lo:[0,0,1] neg_hi:[0,0,1]
	v_mul_i32_i24_e32 v17, 28, v54
	v_add3_u32 v20, v34, v17, v21
	ds_write2_b64 v20, v[32:33], v[18:19] offset1:1
	v_mov_b32_e32 v17, v12
	v_mov_b32_e32 v32, v13
	;; [unrolled: 1-line block ×3, first 2 shown]
	ds_write2_b64 v20, v[16:17], v[32:33] offset0:2 offset1:3
.LBB0_19:
	s_or_b64 exec, exec, s[6:7]
	v_and_b32_e32 v76, 7, v0
	v_mul_u32_u24_e32 v0, 9, v76
	v_lshlrev_b32_e32 v0, 3, v0
	s_waitcnt lgkmcnt(0)
	s_barrier
	global_load_dwordx4 v[34:37], v0, s[4:5]
	global_load_dwordx4 v[38:41], v0, s[4:5] offset:16
	global_load_dwordx4 v[42:45], v0, s[4:5] offset:32
	;; [unrolled: 1-line block ×3, first 2 shown]
	global_load_dwordx2 v[50:51], v0, s[4:5] offset:64
	ds_read_b32 v20, v23
	ds_read_b32 v17, v3
	ds_read2st64_b32 v[56:57], v15 offset0:2 offset1:3
	ds_read2st64_b32 v[32:33], v15 offset0:4 offset1:5
	;; [unrolled: 1-line block ×4, first 2 shown]
	v_mov_b32_e32 v62, v30
	v_mov_b32_e32 v63, v24
	;; [unrolled: 1-line block ×6, first 2 shown]
	s_waitcnt lgkmcnt(2)
	v_mov_b32_e32 v28, v32
	v_mov_b32_e32 v29, v56
	;; [unrolled: 1-line block ×3, first 2 shown]
	s_waitcnt lgkmcnt(0)
	v_mov_b32_e32 v64, v60
	v_mov_b32_e32 v60, v59
	v_mov_b32_e32 v65, v58
	s_mov_b32 s2, 0x3f737871
	s_mov_b32 s6, 0x3f167918
	;; [unrolled: 1-line block ×3, first 2 shown]
	s_barrier
	s_waitcnt vmcnt(4)
	v_mul_f32_e32 v0, v17, v35
	v_mul_f32_e32 v32, v1, v35
	v_mov_b32_e32 v59, v36
	s_waitcnt vmcnt(3)
	v_mov_b32_e32 v36, v41
	v_mov_b32_e32 v41, v38
	s_waitcnt vmcnt(2)
	v_mov_b32_e32 v38, v43
	s_waitcnt vmcnt(0)
	v_mov_b32_e32 v67, v50
	v_mov_b32_e32 v50, v47
	;; [unrolled: 1-line block ×7, first 2 shown]
	v_fma_f32 v0, v1, v34, -v0
	v_fmac_f32_e32 v32, v17, v34
	v_pk_mul_f32 v[34:35], v[28:29], v[36:37]
	v_pk_mul_f32 v[46:47], v[56:57], v[38:39]
	;; [unrolled: 1-line block ×3, first 2 shown]
	v_mov_b32_e32 v42, v48
	v_pk_mul_f32 v[36:37], v[62:63], v[36:37]
	v_pk_mul_f32 v[68:69], v[24:25], v[38:39]
	v_pk_mul_f32 v[70:71], v[64:65], v[44:45]
	v_pk_mul_f32 v[50:51], v[26:27], v[50:51]
	v_pk_fma_f32 v[48:49], v[62:63], v[58:59], v[34:35] neg_lo:[0,0,1] neg_hi:[0,0,1]
	v_pk_fma_f32 v[24:25], v[24:25], v[40:41], v[46:47] neg_lo:[0,0,1] neg_hi:[0,0,1]
	;; [unrolled: 1-line block ×3, first 2 shown]
	v_pk_mul_f32 v[72:73], v[30:31], v[44:45]
	v_pk_fma_f32 v[38:39], v[28:29], v[58:59], v[36:37]
	v_pk_fma_f32 v[34:35], v[56:57], v[40:41], v[68:69]
	v_pk_fma_f32 v[44:45], v[30:31], v[42:43], v[70:71] neg_lo:[0,0,1] neg_hi:[0,0,1]
	v_pk_fma_f32 v[36:37], v[60:61], v[66:67], v[50:51]
	v_add_f32_e32 v1, v22, v49
	v_add_f32_e32 v17, v0, v25
	v_pk_add_f32 v[30:31], v[24:25], v[26:27]
	v_pk_fma_f32 v[40:41], v[64:65], v[42:43], v[72:73]
	v_pk_add_f32 v[28:29], v[34:35], v[36:37] neg_lo:[0,1] neg_hi:[0,1]
	v_pk_add_f32 v[42:43], v[24:25], v[24:25] op_sel:[0,1] op_sel_hi:[1,0] neg_lo:[0,1] neg_hi:[0,1]
	v_pk_add_f32 v[46:47], v[26:27], v[26:27] op_sel:[0,1] op_sel_hi:[1,0] neg_lo:[0,1] neg_hi:[0,1]
	v_pk_add_f32 v[56:57], v[34:35], v[36:37]
	v_add_f32_e32 v33, v1, v48
	v_add_f32_e32 v17, v17, v24
	v_pk_fma_f32 v[0:1], v[30:31], 0.5, v[0:1] op_sel_hi:[1,0,0] neg_lo:[1,0,0] neg_hi:[1,0,0]
	v_pk_add_f32 v[50:51], v[24:25], v[26:27] op_sel:[1,1] op_sel_hi:[0,0] neg_lo:[0,1] neg_hi:[0,1]
	v_pk_mul_f32 v[24:25], v[28:29], s[6:7] op_sel_hi:[1,0]
	v_pk_add_f32 v[42:43], v[42:43], v[46:47]
	v_pk_fma_f32 v[46:47], v[56:57], 0.5, v[32:33] op_sel_hi:[1,0,0] neg_lo:[1,0,0] neg_hi:[1,0,0]
	v_add_f32_e32 v17, v17, v26
	v_pk_fma_f32 v[56:57], v[28:29], s[2:3], v[0:1] op_sel:[0,0,1] op_sel_hi:[1,0,0]
	v_pk_fma_f32 v[0:1], v[28:29], s[2:3], v[0:1] op_sel:[0,0,1] op_sel_hi:[1,0,0] neg_lo:[1,0,0] neg_hi:[1,0,0]
	v_pk_mul_f32 v[30:31], v[42:43], s[8:9] op_sel_hi:[1,0]
	v_add_f32_e32 v59, v17, v27
	v_add_f32_e32 v17, v24, v57
	;; [unrolled: 1-line block ×3, first 2 shown]
	v_mov_b32_e32 v57, v1
	v_add_f32_e32 v31, v31, v17
	v_add_f32_e32 v17, v30, v0
	v_pk_add_f32 v[0:1], v[56:57], v[24:25] op_sel:[0,1] op_sel_hi:[1,0] neg_lo:[0,1] neg_hi:[0,1]
	v_pk_add_f32 v[28:29], v[34:35], v[34:35] op_sel:[0,1] op_sel_hi:[1,0] neg_lo:[0,1] neg_hi:[0,1]
	v_pk_fma_f32 v[42:43], v[42:43], s[8:9], v[0:1] op_sel_hi:[1,0,1]
	v_pk_mul_f32 v[0:1], v[50:51], s[2:3] op_sel_hi:[1,0]
	v_pk_add_f32 v[56:57], v[36:37], v[36:37] op_sel:[0,1] op_sel_hi:[1,0] neg_lo:[0,1] neg_hi:[0,1]
	v_pk_add_f32 v[24:25], v[46:47], v[0:1] op_sel:[1,1] op_sel_hi:[0,0] neg_lo:[0,1] neg_hi:[0,1]
	v_pk_mul_f32 v[26:27], v[50:51], s[6:7] op_sel_hi:[1,0]
	v_pk_add_f32 v[28:29], v[28:29], v[56:57]
	v_sub_f32_e32 v25, v25, v27
	v_pk_mul_f32 v[56:57], v[28:29], s[8:9] op_sel_hi:[1,0]
	v_pk_add_f32 v[0:1], v[0:1], v[46:47] op_sel:[1,1] op_sel_hi:[0,0]
	v_add_f32_e32 v33, v33, v45
	v_add_f32_e32 v55, v57, v25
	v_sub_f32_e32 v0, v0, v26
	v_mov_b32_e32 v25, v1
	v_add_f32_e32 v58, v33, v44
	v_add_f32_e32 v33, v56, v0
	v_pk_fma_f32 v[0:1], v[50:51], s[6:7], v[24:25] op_sel_hi:[1,0,1]
	v_pk_add_f32 v[24:25], v[48:49], v[44:45] op_sel:[1,0] op_sel_hi:[0,1]
	v_pk_fma_f32 v[46:47], v[28:29], s[8:9], v[0:1] op_sel_hi:[1,0,1]
	v_mul_f32_e32 v0, 0x3f167918, v55
	v_fmamk_f32 v60, v31, 0x3f4f1bbd, v0
	v_pk_add_f32 v[0:1], v[38:39], v[40:41] op_sel:[0,1] op_sel_hi:[1,0] neg_lo:[0,1] neg_hi:[0,1]
	v_pk_fma_f32 v[24:25], v[24:25], 0.5, v[22:23] op_sel_hi:[1,0,0] neg_lo:[1,0,0] neg_hi:[1,0,0]
	v_pk_add_f32 v[50:51], v[48:49], v[48:49] op_sel:[0,1] op_sel_hi:[1,0] neg_lo:[0,1] neg_hi:[0,1]
	v_pk_add_f32 v[56:57], v[44:45], v[44:45] op_sel:[1,0] op_sel_hi:[0,1] neg_lo:[0,1] neg_hi:[0,1]
	v_pk_fma_f32 v[26:27], v[0:1], s[2:3], v[24:25] op_sel_hi:[1,0,1]
	v_pk_mul_f32 v[28:29], v[0:1], s[6:7] op_sel_hi:[1,0]
	v_pk_add_f32 v[50:51], v[50:51], v[56:57]
	v_pk_fma_f32 v[0:1], v[0:1], s[2:3], v[24:25] op_sel_hi:[1,0,1] neg_lo:[1,0,0] neg_hi:[1,0,0]
	v_pk_mul_f32 v[56:57], v[50:51], s[8:9] op_sel_hi:[1,0]
	v_add_f32_e32 v22, v28, v27
	v_add_f32_e32 v0, v29, v0
	v_mov_b32_e32 v27, v1
	v_add_f32_e32 v56, v56, v0
	v_pk_add_f32 v[0:1], v[26:27], v[28:29] op_sel:[0,1] op_sel_hi:[1,0] neg_lo:[0,1] neg_hi:[0,1]
	s_mov_b32 s3, s6
	v_pk_fma_f32 v[0:1], v[50:51], s[8:9], v[0:1] op_sel_hi:[1,0,1]
	s_mov_b32 s8, 0xbe9e377a
	s_mov_b32 s9, 0xbf4f1bbd
	v_pk_mul_f32 v[24:25], v[42:43], s[8:9]
	v_mul_f32_e32 v61, 0x3f737871, v33
	v_pk_fma_f32 v[24:25], v[46:47], s[2:3], v[24:25]
	v_fmac_f32_e32 v61, 0x3e9e377a, v17
	v_pk_add_f32 v[26:27], v[0:1], v[24:25]
	v_pk_add_f32 v[0:1], v[0:1], v[24:25] neg_lo:[0,1] neg_hi:[0,1]
	v_lshrrev_b32_e32 v24, 3, v52
	v_mul_u32_u24_e32 v24, 0x50, v24
	v_or_b32_e32 v24, v24, v76
	v_add_f32_e32 v22, v57, v22
	v_lshlrev_b32_e32 v24, 2, v24
	v_add_f32_e32 v30, v58, v59
	v_add_f32_e32 v28, v22, v60
	;; [unrolled: 1-line block ×3, first 2 shown]
	v_sub_f32_e32 v50, v56, v61
	v_add3_u32 v56, 0, v24, v21
	v_add_u32_e32 v21, 0x200, v15
	v_sub_f32_e32 v58, v58, v59
	v_sub_f32_e32 v22, v22, v60
	ds_write2_b32 v56, v30, v28 offset1:8
	ds_write2_b32 v56, v29, v26 offset0:16 offset1:24
	ds_write2_b32 v56, v27, v58 offset0:32 offset1:40
	;; [unrolled: 1-line block ×4, first 2 shown]
	s_waitcnt lgkmcnt(0)
	s_barrier
	ds_read2_b32 v[28:29], v21 offset0:112 offset1:192
	v_add_u32_e32 v21, 0x400, v15
	ds_read2_b32 v[24:25], v15 offset0:80 offset1:160
	ds_read2_b32 v[26:27], v21 offset0:144 offset1:224
	ds_read_b32 v22, v23
	ds_read_b32 v30, v15 offset:2240
	s_and_saveexec_b64 s[2:3], vcc
	s_xor_b64 s[2:3], exec, s[2:3]
	s_or_saveexec_b64 s[2:3], s[2:3]
	v_mov_b32_e32 v50, v49
	v_mov_b32_e32 v51, v48
	;; [unrolled: 1-line block ×4, first 2 shown]
	s_xor_b64 exec, exec, s[2:3]
	s_cbranch_execz .LBB0_21
; %bb.20:
	v_add_u32_e32 v0, 0x400, v15
	ds_read2_b32 v[10:11], v15 offset0:144 offset1:224
	ds_read2_b32 v[58:59], v0 offset0:48 offset1:128
	v_add_u32_e32 v0, 0x600, v15
	ds_read2_b32 v[60:61], v0 offset0:80 offset1:160
	ds_read_b32 v0, v3
	ds_read_b32 v7, v15 offset:2496
	s_waitcnt lgkmcnt(4)
	v_mov_b32_e32 v8, v11
	s_waitcnt lgkmcnt(3)
	v_mov_b32_e32 v9, v58
	v_mov_b32_e32 v1, v10
	;; [unrolled: 1-line block ×3, first 2 shown]
	s_waitcnt lgkmcnt(2)
	v_mov_b32_e32 v11, v60
	v_mov_b32_e32 v6, v61
.LBB0_21:
	s_or_b64 exec, exec, s[2:3]
	v_add_f32_e32 v21, v20, v39
	v_add_f32_e32 v21, v21, v38
	;; [unrolled: 1-line block ×3, first 2 shown]
	v_pk_add_f32 v[44:45], v[50:51], v[44:45] neg_lo:[0,1] neg_hi:[0,1]
	v_pk_add_f32 v[50:51], v[38:39], v[48:49]
	s_mov_b32 s2, 0x3f737871
	v_add_f32_e32 v57, v21, v40
	v_pk_fma_f32 v[20:21], -0.5, v[50:51], v[20:21] op_sel_hi:[0,1,0]
	v_pk_mul_f32 v[50:51], v[44:45], s[2:3] op_sel_hi:[1,0]
	s_mov_b32 s2, 0x3f167918
	v_pk_add_f32 v[38:39], v[38:39], v[38:39] op_sel:[0,1] op_sel_hi:[1,0] neg_lo:[0,1] neg_hi:[0,1]
	v_pk_add_f32 v[40:41], v[40:41], v[48:49] neg_lo:[0,1] neg_hi:[0,1]
	v_pk_add_f32 v[58:59], v[20:21], v[50:51] op_sel:[1,1] op_sel_hi:[0,0] neg_lo:[0,1] neg_hi:[0,1]
	v_pk_mul_f32 v[60:61], v[44:45], s[2:3] op_sel_hi:[1,0]
	v_pk_add_f32 v[38:39], v[38:39], v[40:41] op_sel:[0,1] op_sel_hi:[1,0]
	s_mov_b32 s6, 0x3e9e377a
	v_pk_add_f32 v[20:21], v[50:51], v[20:21] op_sel:[1,1] op_sel_hi:[0,0]
	v_pk_mul_f32 v[40:41], v[38:39], s[6:7] op_sel_hi:[1,0]
	v_sub_f32_e32 v48, v59, v61
	v_sub_f32_e32 v20, v20, v60
	v_mov_b32_e32 v59, v21
	v_add_f32_e32 v40, v40, v20
	v_pk_fma_f32 v[20:21], v[44:45], s[2:3], v[58:59] op_sel_hi:[1,0,1]
	v_add_f32_e32 v32, v32, v35
	v_pk_fma_f32 v[20:21], v[38:39], s[6:7], v[20:21] op_sel_hi:[1,0,1]
	v_add_f32_e32 v32, v32, v34
	s_mov_b32 s6, 0xbe9e377a
	v_add_f32_e32 v32, v32, v36
	s_mov_b32 s2, 0xbf737871
	v_mul_f32_e32 v31, 0xbf167918, v31
	v_mul_f32_e32 v17, 0xbf737871, v17
	s_mov_b32 s7, 0xbf4f1bbd
	v_add_f32_e32 v41, v41, v48
	v_add_f32_e32 v36, v32, v37
	s_mov_b32 s3, 0xbf167918
	v_fmamk_f32 v31, v55, 0x3f4f1bbd, v31
	v_fmac_f32_e32 v17, 0x3e9e377a, v33
	v_pk_mul_f32 v[32:33], v[46:47], s[6:7]
	v_add_f32_e32 v37, v57, v36
	v_add_f32_e32 v38, v41, v31
	;; [unrolled: 1-line block ×3, first 2 shown]
	v_pk_fma_f32 v[32:33], v[42:43], s[2:3], v[32:33]
	v_sub_f32_e32 v17, v40, v17
	v_pk_add_f32 v[34:35], v[20:21], v[32:33]
	v_sub_f32_e32 v36, v57, v36
	v_sub_f32_e32 v31, v41, v31
	v_pk_add_f32 v[20:21], v[20:21], v[32:33] neg_lo:[0,1] neg_hi:[0,1]
	s_waitcnt lgkmcnt(0)
	s_barrier
	ds_write2_b32 v56, v37, v38 offset1:8
	ds_write2_b32 v56, v39, v34 offset0:16 offset1:24
	ds_write2_b32 v56, v35, v36 offset0:32 offset1:40
	;; [unrolled: 1-line block ×4, first 2 shown]
	v_add_u32_e32 v17, 0x200, v15
	s_waitcnt lgkmcnt(0)
	s_barrier
	ds_read2_b32 v[34:35], v17 offset0:112 offset1:192
	v_add_u32_e32 v17, 0x400, v15
	ds_read2_b32 v[32:33], v15 offset0:80 offset1:160
	ds_read2_b32 v[36:37], v17 offset0:144 offset1:224
	ds_read_b32 v23, v23
	ds_read_b32 v38, v15 offset:2240
	s_and_saveexec_b64 s[2:3], vcc
	s_xor_b64 s[2:3], exec, s[2:3]
	s_cbranch_execnz .LBB0_25
; %bb.22:
	s_andn2_saveexec_b64 s[2:3], s[2:3]
	s_cbranch_execnz .LBB0_26
.LBB0_23:
	s_or_b64 exec, exec, s[2:3]
	s_and_saveexec_b64 s[2:3], s[0:1]
	s_cbranch_execnz .LBB0_27
.LBB0_24:
	s_endpgm
.LBB0_25:
                                        ; implicit-def: $vgpr3
                                        ; implicit-def: $vgpr15
	s_andn2_saveexec_b64 s[2:3], s[2:3]
	s_cbranch_execz .LBB0_23
.LBB0_26:
	v_add_u32_e32 v12, 0x400, v15
	ds_read2_b32 v[40:41], v12 offset0:48 offset1:128
	v_add_u32_e32 v12, 0x600, v15
	ds_read2_b32 v[16:17], v15 offset0:144 offset1:224
	ds_read2_b32 v[12:13], v12 offset0:80 offset1:160
	ds_read_b32 v20, v3
	ds_read_b32 v14, v15 offset:2496
	s_waitcnt lgkmcnt(4)
	v_mov_b32_e32 v19, v40
	s_waitcnt lgkmcnt(3)
	v_mov_b32_e32 v18, v17
	v_mov_b32_e32 v21, v16
	;; [unrolled: 1-line block ×3, first 2 shown]
	s_or_b64 exec, exec, s[2:3]
	s_and_saveexec_b64 s[2:3], s[0:1]
	s_cbranch_execz .LBB0_24
.LBB0_27:
	v_mul_u32_u24_e32 v3, 7, v52
	v_lshlrev_b32_e32 v3, 3, v3
	global_load_dwordx4 v[40:43], v3, s[4:5] offset:592
	global_load_dwordx4 v[44:47], v3, s[4:5] offset:576
	;; [unrolled: 1-line block ×3, first 2 shown]
	global_load_dwordx2 v[56:57], v3, s[4:5] offset:624
	s_waitcnt lgkmcnt(4)
	v_mov_b32_e32 v62, v35
	s_waitcnt lgkmcnt(3)
	v_mov_b32_e32 v64, v33
	;; [unrolled: 2-line block ×3, first 2 shown]
	v_mov_b32_e32 v58, v29
	v_mov_b32_e32 v60, v29
	;; [unrolled: 1-line block ×7, first 2 shown]
	s_mov_b32 s0, 0x3f3504f3
	v_lshl_add_u64 v[4:5], v[4:5], 0, v[2:3]
	v_add_co_u32_e32 v76, vcc, 0x1000, v4
	s_waitcnt vmcnt(3)
	v_mov_b32_e32 v78, v43
	v_mov_b32_e32 v79, v42
	s_waitcnt vmcnt(2)
	v_pk_mul_f32 v[64:65], v[64:65], v[46:47] op_sel_hi:[0,1]
	s_waitcnt vmcnt(1)
	v_pk_mul_f32 v[70:71], v[70:71], v[50:51] op_sel_hi:[0,1]
	v_pk_mul_f32 v[34:35], v[34:35], v[40:41] op_sel:[0,1] op_sel_hi:[0,0]
	s_waitcnt vmcnt(0) lgkmcnt(0)
	v_pk_mul_f32 v[38:39], v[38:39], v[56:57] op_sel:[0,1] op_sel_hi:[0,0]
	v_pk_mul_f32 v[32:33], v[32:33], v[44:45] op_sel_hi:[0,1]
	v_pk_mul_f32 v[36:37], v[36:37], v[48:49] op_sel_hi:[0,1]
	;; [unrolled: 1-line block ×3, first 2 shown]
	v_pk_fma_f32 v[66:67], v[66:67], v[46:47], v[64:65] op_sel:[0,0,1] op_sel_hi:[1,1,0] neg_lo:[0,0,1] neg_hi:[0,0,1]
	v_pk_fma_f32 v[46:47], v[68:69], v[46:47], v[64:65] op_sel:[0,0,1] op_sel_hi:[0,1,0]
	v_pk_fma_f32 v[64:65], v[72:73], v[50:51], v[70:71] op_sel:[0,0,1] op_sel_hi:[1,1,0] neg_lo:[0,0,1] neg_hi:[0,0,1]
	v_pk_fma_f32 v[50:51], v[74:75], v[50:51], v[70:71] op_sel:[0,0,1] op_sel_hi:[0,1,0]
	v_pk_fma_f32 v[68:69], v[28:29], v[40:41], v[34:35] neg_lo:[0,0,1] neg_hi:[0,0,1]
	v_pk_fma_f32 v[28:29], v[28:29], v[40:41], v[34:35] op_sel_hi:[0,1,1]
	v_pk_fma_f32 v[34:35], v[30:31], v[56:57], v[38:39] neg_lo:[0,0,1] neg_hi:[0,0,1]
	v_pk_fma_f32 v[30:31], v[30:31], v[56:57], v[38:39] op_sel_hi:[0,1,1]
	v_pk_fma_f32 v[38:39], v[24:25], v[44:45], v[32:33] op_sel:[0,0,1] op_sel_hi:[1,1,0] neg_lo:[0,0,1] neg_hi:[0,0,1]
	v_pk_fma_f32 v[24:25], v[24:25], v[44:45], v[32:33] op_sel:[0,0,1] op_sel_hi:[0,1,0]
	v_pk_fma_f32 v[32:33], v[26:27], v[48:49], v[36:37] op_sel:[0,0,1] op_sel_hi:[1,1,0] neg_lo:[0,0,1] neg_hi:[0,0,1]
	v_pk_fma_f32 v[26:27], v[26:27], v[48:49], v[36:37] op_sel:[0,0,1] op_sel_hi:[0,1,0]
	v_pk_fma_f32 v[36:37], v[58:59], v[42:43], v[62:63] neg_lo:[0,0,1] neg_hi:[0,0,1]
	v_pk_fma_f32 v[40:41], v[60:61], v[42:43], v[62:63] op_sel_hi:[0,1,1]
	v_mov_b32_e32 v67, v47
	v_mov_b32_e32 v65, v51
	;; [unrolled: 1-line block ×7, first 2 shown]
	v_pk_add_f32 v[24:25], v[66:67], v[64:65] neg_lo:[0,1] neg_hi:[0,1]
	v_pk_add_f32 v[26:27], v[68:69], v[34:35] neg_lo:[0,1] neg_hi:[0,1]
	;; [unrolled: 1-line block ×4, first 2 shown]
	v_pk_fma_f32 v[32:33], v[66:67], 2.0, v[24:25] op_sel_hi:[1,0,1] neg_lo:[0,0,1] neg_hi:[0,0,1]
	v_pk_fma_f32 v[34:35], v[38:39], 2.0, v[28:29] op_sel_hi:[1,0,1] neg_lo:[0,0,1] neg_hi:[0,0,1]
	;; [unrolled: 1-line block ×3, first 2 shown]
	v_pk_add_f32 v[38:39], v[28:29], v[26:27] op_sel:[0,1] op_sel_hi:[1,0] neg_lo:[0,1] neg_hi:[0,1]
	v_pk_add_f32 v[26:27], v[28:29], v[26:27] op_sel:[0,1] op_sel_hi:[1,0]
	v_pk_fma_f32 v[22:23], v[22:23], 2.0, v[30:31] op_sel_hi:[1,0,1] neg_lo:[0,0,1] neg_hi:[0,0,1]
	v_pk_add_f32 v[40:41], v[30:31], v[24:25] op_sel:[0,1] op_sel_hi:[1,0] neg_lo:[0,1] neg_hi:[0,1]
	v_pk_add_f32 v[24:25], v[30:31], v[24:25] op_sel:[0,1] op_sel_hi:[1,0]
	v_pk_add_f32 v[36:37], v[34:35], v[36:37] neg_lo:[0,1] neg_hi:[0,1]
	v_mov_b32_e32 v39, v27
	v_pk_add_f32 v[26:27], v[22:23], v[32:33] neg_lo:[0,1] neg_hi:[0,1]
	v_mov_b32_e32 v41, v25
	v_pk_fma_f32 v[32:33], v[34:35], 2.0, v[36:37] op_sel_hi:[1,0,1] neg_lo:[0,0,1] neg_hi:[0,0,1]
	v_pk_fma_f32 v[24:25], v[28:29], 2.0, v[38:39] op_sel_hi:[1,0,1] neg_lo:[0,0,1] neg_hi:[0,0,1]
	v_pk_mul_f32 v[28:29], v[38:39], s[0:1] op_sel_hi:[1,0]
	v_pk_fma_f32 v[22:23], v[22:23], 2.0, v[26:27] op_sel_hi:[1,0,1] neg_lo:[0,0,1] neg_hi:[0,0,1]
	v_pk_fma_f32 v[30:31], v[30:31], 2.0, v[40:41] op_sel_hi:[1,0,1] neg_lo:[0,0,1] neg_hi:[0,0,1]
	v_pk_add_f32 v[42:43], v[26:27], v[36:37] op_sel:[0,1] op_sel_hi:[1,0] neg_lo:[0,1] neg_hi:[0,1]
	v_pk_add_f32 v[36:37], v[26:27], v[36:37] op_sel:[0,1] op_sel_hi:[1,0]
	v_pk_fma_f32 v[38:39], v[38:39], s[0:1], v[40:41] op_sel_hi:[1,0,1]
	v_pk_mul_f32 v[34:35], v[24:25], s[0:1] op_sel_hi:[1,0]
	v_pk_add_f32 v[32:33], v[22:23], v[32:33] neg_lo:[0,1] neg_hi:[0,1]
	v_pk_fma_f32 v[24:25], v[24:25], s[0:1], v[30:31] op_sel_hi:[1,0,1] neg_lo:[1,0,0] neg_hi:[1,0,0]
	v_mov_b32_e32 v43, v37
	v_pk_add_f32 v[36:37], v[38:39], v[28:29] op_sel:[0,1] op_sel_hi:[1,0] neg_lo:[0,1] neg_hi:[0,1]
	v_pk_add_f32 v[28:29], v[38:39], v[28:29] op_sel:[0,1] op_sel_hi:[1,0]
	v_pk_fma_f32 v[22:23], v[22:23], 2.0, v[32:33] op_sel_hi:[1,0,1] neg_lo:[0,0,1] neg_hi:[0,0,1]
	v_pk_add_f32 v[38:39], v[24:25], v[34:35] op_sel:[0,1] op_sel_hi:[1,0] neg_lo:[0,1] neg_hi:[0,1]
	v_pk_add_f32 v[24:25], v[24:25], v[34:35] op_sel:[0,1] op_sel_hi:[1,0]
	v_mov_b32_e32 v37, v29
	v_addc_co_u32_e32 v77, vcc, 0, v5, vcc
	s_movk_i32 s1, 0x50
	v_pk_fma_f32 v[26:27], v[26:27], 2.0, v[42:43] op_sel_hi:[1,0,1] neg_lo:[0,0,1] neg_hi:[0,0,1]
	global_store_dwordx2 v[4:5], v[32:33], off offset:2560
	global_store_dwordx2 v[4:5], v[42:43], off offset:3840
	global_store_dwordx2 v[4:5], v[22:23], off
	v_mov_b32_e32 v39, v25
	v_pk_fma_f32 v[22:23], v[40:41], 2.0, v[36:37] op_sel_hi:[1,0,1] neg_lo:[0,0,1] neg_hi:[0,0,1]
	v_cmp_gt_u32_e32 vcc, s1, v53
	global_store_dwordx2 v[4:5], v[26:27], off offset:1280
	v_pk_fma_f32 v[24:25], v[30:31], 2.0, v[38:39] op_sel_hi:[1,0,1] neg_lo:[0,0,1] neg_hi:[0,0,1]
	global_store_dwordx2 v[4:5], v[22:23], off offset:1920
	global_store_dwordx2 v[4:5], v[38:39], off offset:3200
	;; [unrolled: 1-line block ×4, first 2 shown]
	s_and_b64 exec, exec, vcc
	s_cbranch_execz .LBB0_24
; %bb.28:
	v_add_u32_e32 v2, -16, v52
	v_cmp_gt_u32_e32 vcc, s1, v54
	v_mov_b32_e32 v36, v11
	v_mov_b32_e32 v38, v11
	v_cndmask_b32_e32 v2, v2, v54, vcc
	v_mul_i32_i24_e32 v2, 7, v2
	v_lshl_add_u64 v[2:3], v[2:3], 3, s[4:5]
	global_load_dwordx4 v[22:25], v[2:3], off offset:576
	global_load_dwordx4 v[26:29], v[2:3], off offset:592
	;; [unrolled: 1-line block ×3, first 2 shown]
	global_load_dwordx2 v[34:35], v[2:3], off offset:624
	v_mov_b32_e32 v3, v20
	v_mov_b32_e32 v40, v7
	;; [unrolled: 1-line block ×4, first 2 shown]
	v_add_co_u32_e32 v44, vcc, 0x1000, v4
	s_waitcnt vmcnt(3)
	v_pk_mul_f32 v[20:21], v[20:21], v[22:23] op_sel:[1,0]
	v_pk_mul_f32 v[46:47], v[18:19], v[24:25] op_sel_hi:[0,1]
	s_waitcnt vmcnt(2)
	v_pk_mul_f32 v[18:19], v[18:19], v[26:27] op_sel:[1,0]
	v_pk_mul_f32 v[16:17], v[16:17], v[28:29] op_sel_hi:[0,1]
	s_waitcnt vmcnt(1)
	v_pk_mul_f32 v[48:49], v[12:13], v[30:31] op_sel_hi:[0,1]
	v_pk_mul_f32 v[12:13], v[12:13], v[32:33] op_sel:[1,0]
	s_waitcnt vmcnt(0)
	v_pk_mul_f32 v[14:15], v[14:15], v[34:35] op_sel_hi:[0,1]
	v_pk_fma_f32 v[50:51], v[0:1], v[22:23], v[20:21] op_sel:[1,0,1] op_sel_hi:[1,1,0] neg_lo:[0,0,1] neg_hi:[0,0,1]
	v_pk_fma_f32 v[0:1], v[0:1], v[22:23], v[20:21] op_sel:[1,0,1] op_sel_hi:[1,1,0]
	v_pk_fma_f32 v[20:21], v[8:9], v[24:25], v[46:47] op_sel:[0,0,1] op_sel_hi:[1,1,0] neg_lo:[0,0,1] neg_hi:[0,0,1]
	v_pk_fma_f32 v[22:23], v[8:9], v[24:25], v[46:47] op_sel:[0,0,1] op_sel_hi:[0,1,0]
	;; [unrolled: 2-line block ×7, first 2 shown]
	v_mov_b32_e32 v51, v1
	v_mov_b32_e32 v21, v23
	;; [unrolled: 1-line block ×7, first 2 shown]
	v_pk_add_f32 v[0:1], v[2:3], v[18:19] neg_lo:[0,1] neg_hi:[0,1]
	v_pk_add_f32 v[6:7], v[20:21], v[28:29] neg_lo:[0,1] neg_hi:[0,1]
	;; [unrolled: 1-line block ×4, first 2 shown]
	v_pk_fma_f32 v[2:3], v[2:3], 2.0, v[0:1] op_sel_hi:[1,0,1] neg_lo:[0,0,1] neg_hi:[0,0,1]
	v_pk_fma_f32 v[12:13], v[20:21], 2.0, v[6:7] op_sel_hi:[1,0,1] neg_lo:[0,0,1] neg_hi:[0,0,1]
	;; [unrolled: 1-line block ×4, first 2 shown]
	v_pk_add_f32 v[18:19], v[0:1], v[6:7] op_sel:[0,1] op_sel_hi:[1,0] neg_lo:[0,1] neg_hi:[0,1]
	v_pk_add_f32 v[6:7], v[0:1], v[6:7] op_sel:[0,1] op_sel_hi:[1,0]
	v_pk_add_f32 v[20:21], v[8:9], v[10:11] op_sel:[0,1] op_sel_hi:[1,0] neg_lo:[0,1] neg_hi:[0,1]
	v_pk_add_f32 v[10:11], v[8:9], v[10:11] op_sel:[0,1] op_sel_hi:[1,0]
	v_pk_add_f32 v[12:13], v[2:3], v[12:13] neg_lo:[0,1] neg_hi:[0,1]
	v_pk_add_f32 v[16:17], v[14:15], v[16:17] neg_lo:[0,1] neg_hi:[0,1]
	v_mov_b32_e32 v19, v7
	v_mov_b32_e32 v21, v11
	v_pk_fma_f32 v[6:7], v[14:15], 2.0, v[16:17] op_sel_hi:[1,0,1] neg_lo:[0,0,1] neg_hi:[0,0,1]
	v_pk_fma_f32 v[0:1], v[0:1], 2.0, v[18:19] op_sel_hi:[1,0,1] neg_lo:[0,0,1] neg_hi:[0,0,1]
	;; [unrolled: 1-line block ×3, first 2 shown]
	v_pk_add_f32 v[10:11], v[12:13], v[16:17] op_sel:[0,1] op_sel_hi:[1,0] neg_lo:[0,1] neg_hi:[0,1]
	v_pk_add_f32 v[14:15], v[12:13], v[16:17] op_sel:[0,1] op_sel_hi:[1,0]
	v_pk_mul_f32 v[16:17], v[20:21], s[0:1] op_sel_hi:[1,0]
	v_pk_fma_f32 v[20:21], v[20:21], s[0:1], v[18:19] op_sel_hi:[1,0,1]
	v_pk_fma_f32 v[2:3], v[2:3], 2.0, v[12:13] op_sel_hi:[1,0,1] neg_lo:[0,0,1] neg_hi:[0,0,1]
	v_pk_mul_f32 v[22:23], v[8:9], s[0:1] op_sel_hi:[1,0]
	v_pk_fma_f32 v[8:9], v[8:9], s[0:1], v[0:1] op_sel_hi:[1,0,1] neg_lo:[1,0,0] neg_hi:[1,0,0]
	v_mov_b32_e32 v11, v15
	v_pk_add_f32 v[14:15], v[20:21], v[16:17] op_sel:[0,1] op_sel_hi:[1,0] neg_lo:[0,1] neg_hi:[0,1]
	v_pk_add_f32 v[16:17], v[20:21], v[16:17] op_sel:[0,1] op_sel_hi:[1,0]
	v_pk_add_f32 v[6:7], v[2:3], v[6:7] neg_lo:[0,1] neg_hi:[0,1]
	v_pk_add_f32 v[20:21], v[8:9], v[22:23] op_sel:[0,1] op_sel_hi:[1,0] neg_lo:[0,1] neg_hi:[0,1]
	v_pk_add_f32 v[8:9], v[8:9], v[22:23] op_sel:[0,1] op_sel_hi:[1,0]
	v_mov_b32_e32 v15, v17
	v_addc_co_u32_e32 v45, vcc, 0, v5, vcc
	v_pk_fma_f32 v[2:3], v[2:3], 2.0, v[6:7] op_sel_hi:[1,0,1] neg_lo:[0,0,1] neg_hi:[0,0,1]
	global_store_dwordx2 v[4:5], v[6:7], off offset:3072
	global_store_dwordx2 v[44:45], v[10:11], off offset:256
	v_mov_b32_e32 v21, v9
	v_pk_fma_f32 v[6:7], v[18:19], 2.0, v[14:15] op_sel_hi:[1,0,1] neg_lo:[0,0,1] neg_hi:[0,0,1]
	v_pk_fma_f32 v[12:13], v[12:13], 2.0, v[10:11] op_sel_hi:[1,0,1] neg_lo:[0,0,1] neg_hi:[0,0,1]
	global_store_dwordx2 v[4:5], v[2:3], off offset:512
	global_store_dwordx2 v[4:5], v[12:13], off offset:1792
	v_pk_fma_f32 v[0:1], v[0:1], 2.0, v[20:21] op_sel_hi:[1,0,1] neg_lo:[0,0,1] neg_hi:[0,0,1]
	global_store_dwordx2 v[4:5], v[6:7], off offset:2432
	global_store_dwordx2 v[4:5], v[20:21], off offset:3712
	;; [unrolled: 1-line block ×4, first 2 shown]
	s_endpgm
	.section	.rodata,"a",@progbits
	.p2align	6, 0x0
	.amdhsa_kernel fft_rtc_fwd_len640_factors_8_10_8_wgs_128_tpt_64_halfLds_sp_ip_CI_unitstride_sbrr_dirReg
		.amdhsa_group_segment_fixed_size 0
		.amdhsa_private_segment_fixed_size 0
		.amdhsa_kernarg_size 88
		.amdhsa_user_sgpr_count 2
		.amdhsa_user_sgpr_dispatch_ptr 0
		.amdhsa_user_sgpr_queue_ptr 0
		.amdhsa_user_sgpr_kernarg_segment_ptr 1
		.amdhsa_user_sgpr_dispatch_id 0
		.amdhsa_user_sgpr_kernarg_preload_length 0
		.amdhsa_user_sgpr_kernarg_preload_offset 0
		.amdhsa_user_sgpr_private_segment_size 0
		.amdhsa_uses_dynamic_stack 0
		.amdhsa_enable_private_segment 0
		.amdhsa_system_sgpr_workgroup_id_x 1
		.amdhsa_system_sgpr_workgroup_id_y 0
		.amdhsa_system_sgpr_workgroup_id_z 0
		.amdhsa_system_sgpr_workgroup_info 0
		.amdhsa_system_vgpr_workitem_id 0
		.amdhsa_next_free_vgpr 80
		.amdhsa_next_free_sgpr 22
		.amdhsa_accum_offset 80
		.amdhsa_reserve_vcc 1
		.amdhsa_float_round_mode_32 0
		.amdhsa_float_round_mode_16_64 0
		.amdhsa_float_denorm_mode_32 3
		.amdhsa_float_denorm_mode_16_64 3
		.amdhsa_dx10_clamp 1
		.amdhsa_ieee_mode 1
		.amdhsa_fp16_overflow 0
		.amdhsa_tg_split 0
		.amdhsa_exception_fp_ieee_invalid_op 0
		.amdhsa_exception_fp_denorm_src 0
		.amdhsa_exception_fp_ieee_div_zero 0
		.amdhsa_exception_fp_ieee_overflow 0
		.amdhsa_exception_fp_ieee_underflow 0
		.amdhsa_exception_fp_ieee_inexact 0
		.amdhsa_exception_int_div_zero 0
	.end_amdhsa_kernel
	.text
.Lfunc_end0:
	.size	fft_rtc_fwd_len640_factors_8_10_8_wgs_128_tpt_64_halfLds_sp_ip_CI_unitstride_sbrr_dirReg, .Lfunc_end0-fft_rtc_fwd_len640_factors_8_10_8_wgs_128_tpt_64_halfLds_sp_ip_CI_unitstride_sbrr_dirReg
                                        ; -- End function
	.section	.AMDGPU.csdata,"",@progbits
; Kernel info:
; codeLenInByte = 5708
; NumSgprs: 28
; NumVgprs: 80
; NumAgprs: 0
; TotalNumVgprs: 80
; ScratchSize: 0
; MemoryBound: 0
; FloatMode: 240
; IeeeMode: 1
; LDSByteSize: 0 bytes/workgroup (compile time only)
; SGPRBlocks: 3
; VGPRBlocks: 9
; NumSGPRsForWavesPerEU: 28
; NumVGPRsForWavesPerEU: 80
; AccumOffset: 80
; Occupancy: 6
; WaveLimiterHint : 1
; COMPUTE_PGM_RSRC2:SCRATCH_EN: 0
; COMPUTE_PGM_RSRC2:USER_SGPR: 2
; COMPUTE_PGM_RSRC2:TRAP_HANDLER: 0
; COMPUTE_PGM_RSRC2:TGID_X_EN: 1
; COMPUTE_PGM_RSRC2:TGID_Y_EN: 0
; COMPUTE_PGM_RSRC2:TGID_Z_EN: 0
; COMPUTE_PGM_RSRC2:TIDIG_COMP_CNT: 0
; COMPUTE_PGM_RSRC3_GFX90A:ACCUM_OFFSET: 19
; COMPUTE_PGM_RSRC3_GFX90A:TG_SPLIT: 0
	.text
	.p2alignl 6, 3212836864
	.fill 256, 4, 3212836864
	.type	__hip_cuid_d34388a4cd0f438a,@object ; @__hip_cuid_d34388a4cd0f438a
	.section	.bss,"aw",@nobits
	.globl	__hip_cuid_d34388a4cd0f438a
__hip_cuid_d34388a4cd0f438a:
	.byte	0                               ; 0x0
	.size	__hip_cuid_d34388a4cd0f438a, 1

	.ident	"AMD clang version 19.0.0git (https://github.com/RadeonOpenCompute/llvm-project roc-6.4.0 25133 c7fe45cf4b819c5991fe208aaa96edf142730f1d)"
	.section	".note.GNU-stack","",@progbits
	.addrsig
	.addrsig_sym __hip_cuid_d34388a4cd0f438a
	.amdgpu_metadata
---
amdhsa.kernels:
  - .agpr_count:     0
    .args:
      - .actual_access:  read_only
        .address_space:  global
        .offset:         0
        .size:           8
        .value_kind:     global_buffer
      - .offset:         8
        .size:           8
        .value_kind:     by_value
      - .actual_access:  read_only
        .address_space:  global
        .offset:         16
        .size:           8
        .value_kind:     global_buffer
      - .actual_access:  read_only
        .address_space:  global
        .offset:         24
        .size:           8
        .value_kind:     global_buffer
      - .offset:         32
        .size:           8
        .value_kind:     by_value
      - .actual_access:  read_only
        .address_space:  global
        .offset:         40
        .size:           8
        .value_kind:     global_buffer
      - .actual_access:  read_only
        .address_space:  global
        .offset:         48
        .size:           8
        .value_kind:     global_buffer
      - .offset:         56
        .size:           4
        .value_kind:     by_value
      - .actual_access:  read_only
        .address_space:  global
        .offset:         64
        .size:           8
        .value_kind:     global_buffer
      - .actual_access:  read_only
        .address_space:  global
        .offset:         72
        .size:           8
        .value_kind:     global_buffer
      - .address_space:  global
        .offset:         80
        .size:           8
        .value_kind:     global_buffer
    .group_segment_fixed_size: 0
    .kernarg_segment_align: 8
    .kernarg_segment_size: 88
    .language:       OpenCL C
    .language_version:
      - 2
      - 0
    .max_flat_workgroup_size: 128
    .name:           fft_rtc_fwd_len640_factors_8_10_8_wgs_128_tpt_64_halfLds_sp_ip_CI_unitstride_sbrr_dirReg
    .private_segment_fixed_size: 0
    .sgpr_count:     28
    .sgpr_spill_count: 0
    .symbol:         fft_rtc_fwd_len640_factors_8_10_8_wgs_128_tpt_64_halfLds_sp_ip_CI_unitstride_sbrr_dirReg.kd
    .uniform_work_group_size: 1
    .uses_dynamic_stack: false
    .vgpr_count:     80
    .vgpr_spill_count: 0
    .wavefront_size: 64
amdhsa.target:   amdgcn-amd-amdhsa--gfx950
amdhsa.version:
  - 1
  - 2
...

	.end_amdgpu_metadata
